;; amdgpu-corpus repo=ROCm/rocFFT kind=compiled arch=gfx1030 opt=O3
	.text
	.amdgcn_target "amdgcn-amd-amdhsa--gfx1030"
	.amdhsa_code_object_version 6
	.protected	bluestein_single_back_len49_dim1_dp_op_CI_CI ; -- Begin function bluestein_single_back_len49_dim1_dp_op_CI_CI
	.globl	bluestein_single_back_len49_dim1_dp_op_CI_CI
	.p2align	8
	.type	bluestein_single_back_len49_dim1_dp_op_CI_CI,@function
bluestein_single_back_len49_dim1_dp_op_CI_CI: ; @bluestein_single_back_len49_dim1_dp_op_CI_CI
; %bb.0:
	s_load_dwordx4 s[12:15], s[4:5], 0x28
	v_mul_u32_u24_e32 v1, 0x2493, v0
	s_mov_b32 s0, exec_lo
	v_lshrrev_b32_e32 v1, 16, v1
	v_mad_u64_u32 v[52:53], null, s6, 9, v[1:2]
	v_mov_b32_e32 v53, 0
	s_waitcnt lgkmcnt(0)
	v_cmpx_gt_u64_e64 s[12:13], v[52:53]
	s_cbranch_execz .LBB0_2
; %bb.1:
	s_clause 0x1
	s_load_dwordx4 s[0:3], s[4:5], 0x18
	s_load_dwordx4 s[8:11], s[4:5], 0x0
	v_mul_lo_u16 v1, v1, 7
	s_mov_b32 s12, 0x37e14327
	s_mov_b32 s13, 0x3fe948f6
	;; [unrolled: 1-line block ×4, first 2 shown]
	v_sub_nc_u16 v28, v0, v1
	s_mov_b32 s25, 0x3fd5d0dc
	s_mov_b32 s21, 0x3fe77f67
	;; [unrolled: 1-line block ×4, first 2 shown]
	v_and_b32_e32 v53, 0xffff, v28
	s_mov_b32 s22, s20
	s_mov_b32 s26, s24
	;; [unrolled: 1-line block ×4, first 2 shown]
	v_lshlrev_b32_e32 v55, 4, v53
	s_mov_b32 s28, 0x37c3f68c
	v_mul_lo_u16 v28, v28, 7
	s_waitcnt lgkmcnt(0)
	s_load_dwordx4 s[16:19], s[0:1], 0x0
	s_add_u32 s34, s8, 0x310
	s_addc_u32 s35, s9, 0
	s_load_dwordx2 s[4:5], s[4:5], 0x38
	v_and_b32_e32 v28, 0xffff, v28
	s_waitcnt lgkmcnt(0)
	v_mad_u64_u32 v[16:17], null, s18, v52, 0
	v_mad_u64_u32 v[18:19], null, s16, v53, 0
	s_mul_i32 s0, s17, 0x70
	s_mul_hi_u32 s1, s16, 0x70
	s_mul_i32 s6, s16, 0x70
	s_add_i32 s1, s1, s0
	v_mov_b32_e32 v0, v17
	s_mov_b32 s18, 0xe976ee23
	v_mov_b32_e32 v1, v19
	v_mad_u64_u32 v[4:5], null, s19, v52, v[0:1]
	v_mad_u64_u32 v[19:20], null, s17, v53, v[1:2]
	global_load_dwordx4 v[0:3], v55, s[8:9]
	s_mov_b32 s19, 0xbfe11646
	s_mov_b32 s16, 0xaaaaaaaa
	;; [unrolled: 1-line block ×3, first 2 shown]
	v_mov_b32_e32 v17, v4
	s_clause 0x2
	global_load_dwordx4 v[4:7], v55, s[8:9] offset:112
	global_load_dwordx4 v[8:11], v55, s[8:9] offset:224
	;; [unrolled: 1-line block ×3, first 2 shown]
	v_lshlrev_b64 v[18:19], 4, v[18:19]
	v_lshlrev_b64 v[16:17], 4, v[16:17]
	v_add_co_u32 v16, vcc_lo, s14, v16
	v_add_co_ci_u32_e32 v17, vcc_lo, s15, v17, vcc_lo
	s_mov_b32 s14, 0x429ad128
	v_add_co_u32 v20, vcc_lo, v16, v18
	v_add_co_ci_u32_e32 v21, vcc_lo, v17, v19, vcc_lo
	global_load_dwordx4 v[16:19], v55, s[8:9] offset:448
	v_add_co_u32 v22, vcc_lo, v20, s6
	v_add_co_ci_u32_e32 v23, vcc_lo, s1, v21, vcc_lo
	global_load_dwordx4 v[29:32], v[20:21], off
	v_add_co_u32 v24, vcc_lo, v22, s6
	global_load_dwordx4 v[33:36], v[22:23], off
	v_add_co_ci_u32_e32 v25, vcc_lo, s1, v23, vcc_lo
	v_add_co_u32 v20, vcc_lo, v24, s6
	s_mov_b32 s15, 0xbfebfeb5
	v_add_co_ci_u32_e32 v21, vcc_lo, s1, v25, vcc_lo
	v_add_co_u32 v22, vcc_lo, v20, s6
	s_clause 0x1
	global_load_dwordx4 v[37:40], v[24:25], off
	global_load_dwordx4 v[41:44], v[20:21], off
	v_add_co_ci_u32_e32 v23, vcc_lo, s1, v21, vcc_lo
	v_add_co_u32 v24, vcc_lo, v22, s6
	s_mov_b32 s30, s14
	v_add_co_ci_u32_e32 v25, vcc_lo, s1, v23, vcc_lo
	v_add_co_u32 v49, vcc_lo, v24, s6
	s_mov_b32 s6, 0x36b3c0b5
	v_add_co_ci_u32_e32 v50, vcc_lo, s1, v25, vcc_lo
	global_load_dwordx4 v[45:48], v[22:23], off
	global_load_dwordx4 v[20:23], v55, s[8:9] offset:560
	global_load_dwordx4 v[56:59], v[24:25], off
	global_load_dwordx4 v[24:27], v55, s[8:9] offset:672
	global_load_dwordx4 v[60:63], v[49:50], off
	v_mul_hi_u32 v49, 0x38e38e39, v52
	s_load_dwordx4 s[0:3], s[2:3], 0x0
	s_mov_b32 s7, 0x3fac98ee
	v_lshrrev_b32_e32 v51, 1, v49
	v_lshl_add_u32 v51, v51, 3, v51
	v_sub_nc_u32_e32 v51, v52, v51
	s_waitcnt vmcnt(8)
	v_mul_f64 v[49:50], v[31:32], v[2:3]
	v_mul_f64 v[64:65], v[29:30], v[2:3]
	s_waitcnt vmcnt(7)
	v_mul_f64 v[66:67], v[35:36], v[6:7]
	v_mul_f64 v[68:69], v[33:34], v[6:7]
	;; [unrolled: 3-line block ×4, first 2 shown]
	v_fma_f64 v[29:30], v[29:30], v[0:1], v[49:50]
	s_waitcnt vmcnt(4)
	v_mul_f64 v[78:79], v[47:48], v[18:19]
	v_mul_f64 v[80:81], v[45:46], v[18:19]
	s_waitcnt vmcnt(2)
	v_mul_f64 v[82:83], v[58:59], v[22:23]
	v_mul_f64 v[84:85], v[56:57], v[22:23]
	;; [unrolled: 3-line block ×3, first 2 shown]
	v_fma_f64 v[31:32], v[31:32], v[0:1], -v[64:65]
	v_fma_f64 v[33:34], v[33:34], v[4:5], v[66:67]
	v_fma_f64 v[35:36], v[35:36], v[4:5], -v[68:69]
	v_mul_u32_u24_e32 v49, 49, v51
	v_fma_f64 v[37:38], v[37:38], v[8:9], v[70:71]
	v_fma_f64 v[39:40], v[39:40], v[8:9], -v[72:73]
	v_fma_f64 v[41:42], v[41:42], v[12:13], v[74:75]
	v_fma_f64 v[43:44], v[43:44], v[12:13], -v[76:77]
	v_lshlrev_b32_e32 v51, 4, v49
	v_add_nc_u32_e32 v54, v55, v51
	v_fma_f64 v[45:46], v[45:46], v[16:17], v[78:79]
	v_fma_f64 v[47:48], v[47:48], v[16:17], -v[80:81]
	v_fma_f64 v[56:57], v[56:57], v[20:21], v[82:83]
	v_fma_f64 v[58:59], v[58:59], v[20:21], -v[84:85]
	;; [unrolled: 2-line block ×3, first 2 shown]
	ds_write_b128 v54, v[29:32]
	ds_write_b128 v54, v[33:36] offset:112
	ds_write_b128 v54, v[37:40] offset:224
	;; [unrolled: 1-line block ×6, first 2 shown]
	s_waitcnt lgkmcnt(0)
	s_barrier
	buffer_gl0_inv
	ds_read_b128 v[29:32], v54 offset:112
	ds_read_b128 v[33:36], v54 offset:672
	;; [unrolled: 1-line block ×6, first 2 shown]
	s_waitcnt lgkmcnt(4)
	v_add_f64 v[49:50], v[29:30], v[33:34]
	v_add_f64 v[60:61], v[31:32], v[35:36]
	s_waitcnt lgkmcnt(2)
	v_add_f64 v[62:63], v[41:42], v[37:38]
	v_add_f64 v[64:65], v[43:44], v[39:40]
	v_add_f64 v[37:38], v[41:42], -v[37:38]
	v_add_f64 v[39:40], v[43:44], -v[39:40]
	s_waitcnt lgkmcnt(0)
	v_add_f64 v[41:42], v[56:57], v[45:46]
	v_add_f64 v[43:44], v[58:59], v[47:48]
	v_add_f64 v[45:46], v[45:46], -v[56:57]
	v_add_f64 v[47:48], v[47:48], -v[58:59]
	;; [unrolled: 1-line block ×4, first 2 shown]
	ds_read_b128 v[29:32], v54
	s_waitcnt lgkmcnt(0)
	s_barrier
	buffer_gl0_inv
	v_add_f64 v[56:57], v[62:63], v[49:50]
	v_add_f64 v[58:59], v[64:65], v[60:61]
	v_add_f64 v[66:67], v[49:50], -v[41:42]
	v_add_f64 v[68:69], v[60:61], -v[43:44]
	;; [unrolled: 1-line block ×6, first 2 shown]
	v_add_f64 v[37:38], v[45:46], v[37:38]
	v_add_f64 v[39:40], v[47:48], v[39:40]
	v_add_f64 v[45:46], v[33:34], -v[45:46]
	v_add_f64 v[47:48], v[35:36], -v[47:48]
	;; [unrolled: 1-line block ×4, first 2 shown]
	v_add_f64 v[56:57], v[41:42], v[56:57]
	v_add_f64 v[58:59], v[43:44], v[58:59]
	v_add_f64 v[41:42], v[41:42], -v[62:63]
	v_add_f64 v[43:44], v[43:44], -v[64:65]
	v_mul_f64 v[66:67], v[66:67], s[12:13]
	v_mul_f64 v[68:69], v[68:69], s[12:13]
	;; [unrolled: 1-line block ×6, first 2 shown]
	v_add_f64 v[33:34], v[37:38], v[33:34]
	v_add_f64 v[35:36], v[39:40], v[35:36]
	;; [unrolled: 1-line block ×4, first 2 shown]
	v_mul_f64 v[64:65], v[41:42], s[6:7]
	v_mul_f64 v[80:81], v[43:44], s[6:7]
	v_fma_f64 v[37:38], v[41:42], s[6:7], v[66:67]
	v_fma_f64 v[39:40], v[43:44], s[6:7], v[68:69]
	;; [unrolled: 1-line block ×6, first 2 shown]
	v_fma_f64 v[62:63], v[49:50], s[22:23], -v[66:67]
	v_fma_f64 v[66:67], v[60:61], s[22:23], -v[68:69]
	;; [unrolled: 1-line block ×4, first 2 shown]
	v_fma_f64 v[56:57], v[56:57], s[16:17], v[29:30]
	v_fma_f64 v[58:59], v[58:59], s[16:17], v[31:32]
	v_fma_f64 v[49:50], v[49:50], s[20:21], -v[64:65]
	v_fma_f64 v[60:61], v[60:61], s[20:21], -v[80:81]
	v_fma_f64 v[64:65], v[33:34], s[28:29], v[41:42]
	v_fma_f64 v[68:69], v[35:36], s[28:29], v[43:44]
	;; [unrolled: 1-line block ×6, first 2 shown]
	v_add_f64 v[78:79], v[37:38], v[56:57]
	v_add_f64 v[80:81], v[39:40], v[58:59]
	;; [unrolled: 1-line block ×6, first 2 shown]
	v_mul_u32_u24_e32 v49, 6, v53
	v_lshl_add_u32 v56, v28, 4, v51
	v_add_f64 v[33:34], v[78:79], v[68:69]
	v_add_f64 v[35:36], v[80:81], -v[64:65]
	v_add_f64 v[37:38], v[62:63], v[76:77]
	v_add_f64 v[39:40], v[66:67], -v[74:75]
	v_add_f64 v[41:42], v[45:46], -v[72:73]
	v_add_f64 v[43:44], v[70:71], v[47:48]
	v_add_f64 v[45:46], v[45:46], v[72:73]
	v_add_f64 v[47:48], v[47:48], -v[70:71]
	v_add_f64 v[57:58], v[62:63], -v[76:77]
	v_add_f64 v[59:60], v[74:75], v[66:67]
	v_add_f64 v[61:62], v[78:79], -v[68:69]
	v_add_f64 v[63:64], v[64:65], v[80:81]
	v_lshlrev_b32_e32 v65, 4, v49
	ds_write_b128 v56, v[29:32]
	ds_write_b128 v56, v[33:36] offset:16
	ds_write_b128 v56, v[37:40] offset:32
	;; [unrolled: 1-line block ×6, first 2 shown]
	s_waitcnt lgkmcnt(0)
	s_barrier
	buffer_gl0_inv
	s_clause 0x5
	global_load_dwordx4 v[32:35], v65, s[10:11]
	global_load_dwordx4 v[28:31], v65, s[10:11] offset:16
	global_load_dwordx4 v[36:39], v65, s[10:11] offset:80
	;; [unrolled: 1-line block ×5, first 2 shown]
	ds_read_b128 v[57:60], v54 offset:112
	ds_read_b128 v[61:64], v54 offset:224
	;; [unrolled: 1-line block ×6, first 2 shown]
	s_waitcnt vmcnt(5) lgkmcnt(5)
	v_mul_f64 v[81:82], v[59:60], v[34:35]
	v_mul_f64 v[83:84], v[57:58], v[34:35]
	s_waitcnt vmcnt(4) lgkmcnt(4)
	v_mul_f64 v[85:86], v[63:64], v[30:31]
	v_mul_f64 v[87:88], v[61:62], v[30:31]
	;; [unrolled: 3-line block ×4, first 2 shown]
	s_waitcnt vmcnt(1) lgkmcnt(1)
	v_mul_f64 v[97:98], v[75:76], v[46:47]
	v_fma_f64 v[57:58], v[57:58], v[32:33], -v[81:82]
	v_fma_f64 v[81:82], v[59:60], v[32:33], v[83:84]
	v_mul_f64 v[59:60], v[73:74], v[46:47]
	s_waitcnt vmcnt(0) lgkmcnt(0)
	v_mul_f64 v[83:84], v[79:80], v[42:43]
	v_fma_f64 v[61:62], v[61:62], v[28:29], -v[85:86]
	v_fma_f64 v[63:64], v[63:64], v[28:29], v[87:88]
	v_mul_f64 v[85:86], v[77:78], v[42:43]
	v_fma_f64 v[65:66], v[65:66], v[36:37], -v[89:90]
	v_fma_f64 v[67:68], v[67:68], v[36:37], v[91:92]
	v_fma_f64 v[69:70], v[69:70], v[48:49], -v[93:94]
	v_fma_f64 v[71:72], v[71:72], v[48:49], v[95:96]
	;; [unrolled: 2-line block ×4, first 2 shown]
	v_add_f64 v[79:80], v[57:58], v[65:66]
	v_add_f64 v[83:84], v[81:82], v[67:68]
	;; [unrolled: 1-line block ×4, first 2 shown]
	v_add_f64 v[61:62], v[61:62], -v[69:70]
	v_add_f64 v[65:66], v[57:58], -v[65:66]
	;; [unrolled: 1-line block ×5, first 2 shown]
	v_add_f64 v[89:90], v[73:74], v[59:60]
	ds_read_b128 v[57:60], v54
	v_add_f64 v[91:92], v[75:76], v[77:78]
	v_add_f64 v[71:72], v[77:78], -v[75:76]
	v_add_f64 v[93:94], v[85:86], v[79:80]
	v_add_f64 v[95:96], v[87:88], v[83:84]
	v_add_f64 v[77:78], v[61:62], -v[65:66]
	v_add_f64 v[75:76], v[69:70], -v[61:62]
	;; [unrolled: 1-line block ×4, first 2 shown]
	v_add_f64 v[61:62], v[69:70], v[61:62]
	v_add_f64 v[97:98], v[71:72], -v[63:64]
	v_add_f64 v[69:70], v[65:66], -v[69:70]
	v_add_f64 v[73:74], v[89:90], v[93:94]
	v_add_f64 v[93:94], v[91:92], v[95:96]
	v_add_f64 v[95:96], v[83:84], -v[91:92]
	v_add_f64 v[89:90], v[89:90], -v[85:86]
	;; [unrolled: 1-line block ×4, first 2 shown]
	v_add_f64 v[63:64], v[71:72], v[63:64]
	v_add_f64 v[83:84], v[87:88], -v[83:84]
	v_mul_f64 v[87:88], v[77:78], s[14:15]
	v_add_f64 v[71:72], v[67:68], -v[71:72]
	v_mul_f64 v[75:76], v[75:76], s[18:19]
	v_mul_f64 v[81:82], v[81:82], s[12:13]
	v_add_f64 v[61:62], v[61:62], v[65:66]
	v_mul_f64 v[97:98], v[97:98], s[18:19]
	s_mov_b32 s19, 0x3fe11646
	s_waitcnt lgkmcnt(0)
	v_add_f64 v[57:58], v[57:58], v[73:74]
	v_add_f64 v[59:60], v[59:60], v[93:94]
	v_mul_f64 v[95:96], v[95:96], s[12:13]
	v_mul_f64 v[65:66], v[85:86], s[14:15]
	v_add_f64 v[63:64], v[63:64], v[67:68]
	v_mul_f64 v[67:68], v[89:90], s[6:7]
	v_fma_f64 v[77:78], v[77:78], s[30:31], -v[75:76]
	v_fma_f64 v[75:76], v[69:70], s[24:25], v[75:76]
	v_fma_f64 v[69:70], v[69:70], s[26:27], v[87:88]
	v_mul_f64 v[87:88], v[91:92], s[6:7]
	v_fma_f64 v[85:86], v[85:86], s[30:31], -v[97:98]
	v_fma_f64 v[97:98], v[71:72], s[24:25], v[97:98]
	v_fma_f64 v[89:90], v[89:90], s[6:7], v[81:82]
	v_fma_f64 v[81:82], v[79:80], s[22:23], -v[81:82]
	v_fma_f64 v[91:92], v[91:92], s[6:7], v[95:96]
	v_fma_f64 v[65:66], v[71:72], s[26:27], v[65:66]
	;; [unrolled: 1-line block ×4, first 2 shown]
	v_fma_f64 v[93:94], v[83:84], s[22:23], -v[95:96]
	v_fma_f64 v[67:68], v[79:80], s[20:21], -v[67:68]
	;; [unrolled: 1-line block ×3, first 2 shown]
	v_fma_f64 v[83:84], v[61:62], s[28:29], v[75:76]
	v_fma_f64 v[87:88], v[63:64], s[28:29], v[97:98]
	;; [unrolled: 1-line block ×6, first 2 shown]
	v_add_f64 v[89:90], v[89:90], v[71:72]
	v_add_f64 v[91:92], v[91:92], v[73:74]
	;; [unrolled: 1-line block ×5, first 2 shown]
	s_mov_b32 s29, 0xbfdc38aa
	v_add_f64 v[79:80], v[79:80], v[73:74]
	v_add_f64 v[61:62], v[87:88], v[89:90]
	v_add_f64 v[63:64], v[91:92], -v[83:84]
	v_add_f64 v[65:66], v[95:96], v[81:82]
	v_add_f64 v[67:68], v[93:94], -v[85:86]
	v_add_f64 v[69:70], v[97:98], -v[77:78]
	v_add_f64 v[73:74], v[77:78], v[97:98]
	v_add_f64 v[77:78], v[81:82], -v[95:96]
	v_add_f64 v[81:82], v[89:90], -v[87:88]
	v_add_f64 v[83:84], v[83:84], v[91:92]
	v_add_f64 v[71:72], v[75:76], v[79:80]
	v_add_f64 v[75:76], v[79:80], -v[75:76]
	v_add_f64 v[79:80], v[85:86], v[93:94]
	ds_write_b128 v54, v[57:60]
	ds_write_b128 v54, v[61:64] offset:112
	ds_write_b128 v54, v[65:68] offset:224
	;; [unrolled: 1-line block ×6, first 2 shown]
	s_waitcnt lgkmcnt(0)
	s_barrier
	buffer_gl0_inv
	s_clause 0x6
	global_load_dwordx4 v[57:60], v55, s[8:9] offset:784
	global_load_dwordx4 v[61:64], v55, s[34:35] offset:112
	;; [unrolled: 1-line block ×7, first 2 shown]
	ds_read_b128 v[85:88], v54
	ds_read_b128 v[89:92], v54 offset:112
	s_waitcnt vmcnt(6) lgkmcnt(1)
	v_mul_f64 v[93:94], v[87:88], v[59:60]
	v_mul_f64 v[59:60], v[85:86], v[59:60]
	v_fma_f64 v[85:86], v[85:86], v[57:58], -v[93:94]
	s_waitcnt vmcnt(5) lgkmcnt(0)
	v_mul_f64 v[93:94], v[91:92], v[63:64]
	v_mul_f64 v[63:64], v[89:90], v[63:64]
	v_fma_f64 v[87:88], v[87:88], v[57:58], v[59:60]
	ds_read_b128 v[57:60], v54 offset:224
	v_fma_f64 v[89:90], v[89:90], v[61:62], -v[93:94]
	v_fma_f64 v[91:92], v[91:92], v[61:62], v[63:64]
	ds_read_b128 v[61:64], v54 offset:336
	s_waitcnt vmcnt(4) lgkmcnt(1)
	v_mul_f64 v[95:96], v[59:60], v[67:68]
	v_mul_f64 v[67:68], v[57:58], v[67:68]
	s_waitcnt vmcnt(3) lgkmcnt(0)
	v_mul_f64 v[93:94], v[63:64], v[71:72]
	v_mul_f64 v[71:72], v[61:62], v[71:72]
	v_fma_f64 v[57:58], v[57:58], v[65:66], -v[95:96]
	v_fma_f64 v[59:60], v[59:60], v[65:66], v[67:68]
	ds_read_b128 v[65:68], v54 offset:448
	v_fma_f64 v[61:62], v[61:62], v[69:70], -v[93:94]
	v_fma_f64 v[63:64], v[63:64], v[69:70], v[71:72]
	ds_read_b128 v[69:72], v54 offset:560
	s_waitcnt vmcnt(2) lgkmcnt(1)
	v_mul_f64 v[95:96], v[67:68], v[75:76]
	v_mul_f64 v[75:76], v[65:66], v[75:76]
	s_waitcnt vmcnt(1) lgkmcnt(0)
	v_mul_f64 v[93:94], v[71:72], v[79:80]
	v_mul_f64 v[79:80], v[69:70], v[79:80]
	v_fma_f64 v[65:66], v[65:66], v[73:74], -v[95:96]
	v_fma_f64 v[67:68], v[67:68], v[73:74], v[75:76]
	ds_read_b128 v[73:76], v54 offset:672
	v_fma_f64 v[69:70], v[69:70], v[77:78], -v[93:94]
	v_fma_f64 v[71:72], v[71:72], v[77:78], v[79:80]
	s_waitcnt vmcnt(0) lgkmcnt(0)
	v_mul_f64 v[95:96], v[75:76], v[83:84]
	v_mul_f64 v[77:78], v[73:74], v[83:84]
	v_fma_f64 v[73:74], v[73:74], v[81:82], -v[95:96]
	v_fma_f64 v[75:76], v[75:76], v[81:82], v[77:78]
	ds_write_b128 v54, v[85:88]
	ds_write_b128 v54, v[89:92] offset:112
	ds_write_b128 v54, v[57:60] offset:224
	ds_write_b128 v54, v[61:64] offset:336
	ds_write_b128 v54, v[65:68] offset:448
	ds_write_b128 v54, v[69:72] offset:560
	ds_write_b128 v54, v[73:76] offset:672
	s_waitcnt lgkmcnt(0)
	s_barrier
	buffer_gl0_inv
	ds_read_b128 v[57:60], v54 offset:112
	ds_read_b128 v[61:64], v54 offset:672
	;; [unrolled: 1-line block ×6, first 2 shown]
	s_waitcnt lgkmcnt(4)
	v_add_f64 v[81:82], v[57:58], v[61:62]
	v_add_f64 v[83:84], v[59:60], v[63:64]
	s_waitcnt lgkmcnt(2)
	v_add_f64 v[85:86], v[69:70], v[65:66]
	v_add_f64 v[87:88], v[71:72], v[67:68]
	v_add_f64 v[65:66], v[69:70], -v[65:66]
	v_add_f64 v[67:68], v[71:72], -v[67:68]
	s_waitcnt lgkmcnt(0)
	v_add_f64 v[69:70], v[73:74], -v[77:78]
	v_add_f64 v[71:72], v[77:78], v[73:74]
	v_add_f64 v[73:74], v[75:76], -v[79:80]
	v_add_f64 v[75:76], v[79:80], v[75:76]
	v_add_f64 v[61:62], v[57:58], -v[61:62]
	v_add_f64 v[63:64], v[59:60], -v[63:64]
	ds_read_b128 v[57:60], v54
	s_waitcnt lgkmcnt(0)
	s_barrier
	buffer_gl0_inv
	v_add_f64 v[77:78], v[85:86], v[81:82]
	v_add_f64 v[79:80], v[87:88], v[83:84]
	v_add_f64 v[89:90], v[69:70], -v[65:66]
	v_add_f64 v[91:92], v[81:82], -v[71:72]
	;; [unrolled: 1-line block ×6, first 2 shown]
	v_add_f64 v[65:66], v[69:70], v[65:66]
	v_add_f64 v[67:68], v[73:74], v[67:68]
	v_add_f64 v[69:70], v[61:62], -v[69:70]
	v_add_f64 v[73:74], v[63:64], -v[73:74]
	;; [unrolled: 1-line block ×4, first 2 shown]
	v_add_f64 v[77:78], v[71:72], v[77:78]
	v_add_f64 v[79:80], v[75:76], v[79:80]
	v_add_f64 v[71:72], v[71:72], -v[85:86]
	v_add_f64 v[75:76], v[75:76], -v[87:88]
	v_mul_f64 v[85:86], v[89:90], s[18:19]
	v_mul_f64 v[87:88], v[91:92], s[12:13]
	;; [unrolled: 1-line block ×6, first 2 shown]
	v_add_f64 v[61:62], v[65:66], v[61:62]
	v_add_f64 v[63:64], v[67:68], v[63:64]
	;; [unrolled: 1-line block ×4, first 2 shown]
	v_mul_f64 v[65:66], v[71:72], s[6:7]
	v_mul_f64 v[67:68], v[75:76], s[6:7]
	v_fma_f64 v[97:98], v[97:98], s[14:15], -v[85:86]
	v_fma_f64 v[85:86], v[69:70], s[26:27], v[85:86]
	v_fma_f64 v[99:100], v[99:100], s[14:15], -v[89:90]
	v_fma_f64 v[89:90], v[73:74], s[26:27], v[89:90]
	v_fma_f64 v[71:72], v[71:72], s[6:7], v[87:88]
	;; [unrolled: 1-line block ×5, first 2 shown]
	v_fma_f64 v[87:88], v[81:82], s[22:23], -v[87:88]
	v_fma_f64 v[91:92], v[83:84], s[22:23], -v[91:92]
	v_fma_f64 v[77:78], v[77:78], s[16:17], v[57:58]
	v_fma_f64 v[79:80], v[79:80], s[16:17], v[59:60]
	v_fma_f64 v[65:66], v[81:82], s[20:21], -v[65:66]
	v_fma_f64 v[67:68], v[83:84], s[20:21], -v[67:68]
	v_fma_f64 v[83:84], v[61:62], s[28:29], v[85:86]
	v_fma_f64 v[85:86], v[61:62], s[28:29], v[97:98]
	;; [unrolled: 1-line block ×6, first 2 shown]
	v_add_f64 v[97:98], v[71:72], v[77:78]
	v_add_f64 v[99:100], v[75:76], v[79:80]
	;; [unrolled: 1-line block ×7, first 2 shown]
	v_add_f64 v[63:64], v[99:100], -v[83:84]
	v_add_f64 v[65:66], v[87:88], v[95:96]
	v_add_f64 v[67:68], v[91:92], -v[93:94]
	v_add_f64 v[69:70], v[73:74], -v[89:90]
	v_add_f64 v[71:72], v[85:86], v[75:76]
	v_add_f64 v[73:74], v[73:74], v[89:90]
	v_add_f64 v[75:76], v[75:76], -v[85:86]
	v_add_f64 v[77:78], v[87:88], -v[95:96]
	v_add_f64 v[79:80], v[93:94], v[91:92]
	v_add_f64 v[81:82], v[97:98], -v[81:82]
	v_add_f64 v[83:84], v[83:84], v[99:100]
	ds_write_b128 v56, v[57:60]
	ds_write_b128 v56, v[61:64] offset:16
	ds_write_b128 v56, v[65:68] offset:32
	;; [unrolled: 1-line block ×6, first 2 shown]
	s_waitcnt lgkmcnt(0)
	s_barrier
	buffer_gl0_inv
	ds_read_b128 v[55:58], v54 offset:112
	ds_read_b128 v[59:62], v54 offset:224
	;; [unrolled: 1-line block ×6, first 2 shown]
	s_waitcnt lgkmcnt(5)
	v_mul_f64 v[79:80], v[34:35], v[57:58]
	v_mul_f64 v[34:35], v[34:35], v[55:56]
	s_waitcnt lgkmcnt(4)
	v_mul_f64 v[81:82], v[30:31], v[61:62]
	v_mul_f64 v[30:31], v[30:31], v[59:60]
	;; [unrolled: 3-line block ×5, first 2 shown]
	v_fma_f64 v[55:56], v[32:33], v[55:56], v[79:80]
	v_fma_f64 v[32:33], v[32:33], v[57:58], -v[34:35]
	s_waitcnt lgkmcnt(0)
	v_mul_f64 v[34:35], v[42:43], v[77:78]
	v_mul_f64 v[42:43], v[42:43], v[75:76]
	v_fma_f64 v[57:58], v[28:29], v[59:60], v[81:82]
	v_fma_f64 v[28:29], v[28:29], v[61:62], -v[30:31]
	v_fma_f64 v[30:31], v[36:37], v[63:64], v[83:84]
	v_fma_f64 v[36:37], v[36:37], v[65:66], -v[38:39]
	;; [unrolled: 2-line block ×5, first 2 shown]
	v_add_f64 v[42:43], v[55:56], v[30:31]
	v_add_f64 v[46:47], v[32:33], v[36:37]
	;; [unrolled: 1-line block ×4, first 2 shown]
	v_add_f64 v[38:39], v[57:58], -v[38:39]
	v_add_f64 v[48:49], v[28:29], -v[48:49]
	;; [unrolled: 1-line block ×3, first 2 shown]
	v_add_f64 v[57:58], v[50:51], v[34:35]
	v_add_f64 v[63:64], v[44:45], v[40:41]
	v_add_f64 v[34:35], v[34:35], -v[50:51]
	v_add_f64 v[40:41], v[40:41], -v[44:45]
	;; [unrolled: 1-line block ×3, first 2 shown]
	v_add_f64 v[28:29], v[59:60], v[42:43]
	v_add_f64 v[30:31], v[61:62], v[46:47]
	v_add_f64 v[69:70], v[48:49], -v[32:33]
	v_add_f64 v[36:37], v[42:43], -v[57:58]
	;; [unrolled: 1-line block ×6, first 2 shown]
	v_add_f64 v[38:39], v[34:35], v[38:39]
	v_add_f64 v[71:72], v[57:58], v[28:29]
	;; [unrolled: 1-line block ×3, first 2 shown]
	ds_read_b128 v[28:31], v54
	v_add_f64 v[57:58], v[57:58], -v[59:60]
	v_add_f64 v[63:64], v[63:64], -v[61:62]
	v_add_f64 v[48:49], v[40:41], v[48:49]
	v_add_f64 v[34:35], v[44:45], -v[34:35]
	v_add_f64 v[40:41], v[32:33], -v[40:41]
	v_mul_f64 v[77:78], v[69:70], s[30:31]
	v_add_f64 v[42:43], v[59:60], -v[42:43]
	v_add_f64 v[46:47], v[61:62], -v[46:47]
	v_mul_f64 v[36:37], v[36:37], s[12:13]
	v_mul_f64 v[50:51], v[50:51], s[12:13]
	;; [unrolled: 1-line block ×5, first 2 shown]
	v_add_f64 v[38:39], v[38:39], v[44:45]
	s_waitcnt lgkmcnt(0)
	v_add_f64 v[28:29], v[28:29], v[71:72]
	v_add_f64 v[30:31], v[30:31], v[73:74]
	v_mul_f64 v[59:60], v[57:58], s[6:7]
	v_mul_f64 v[61:62], v[63:64], s[6:7]
	v_add_f64 v[32:33], v[48:49], v[32:33]
	v_fma_f64 v[44:45], v[57:58], s[6:7], v[36:37]
	v_fma_f64 v[48:49], v[63:64], s[6:7], v[50:51]
	;; [unrolled: 1-line block ×4, first 2 shown]
	v_fma_f64 v[55:56], v[67:68], s[14:15], -v[55:56]
	v_fma_f64 v[65:66], v[69:70], s[14:15], -v[65:66]
	v_fma_f64 v[67:68], v[71:72], s[16:17], v[28:29]
	v_fma_f64 v[69:70], v[73:74], s[16:17], v[30:31]
	;; [unrolled: 1-line block ×4, first 2 shown]
	v_fma_f64 v[36:37], v[42:43], s[22:23], -v[36:37]
	v_fma_f64 v[50:51], v[46:47], s[22:23], -v[50:51]
	;; [unrolled: 1-line block ×4, first 2 shown]
	v_fma_f64 v[57:58], v[38:39], s[28:29], v[57:58]
	v_fma_f64 v[59:60], v[32:33], s[28:29], v[63:64]
	;; [unrolled: 1-line block ×4, first 2 shown]
	v_add_f64 v[71:72], v[44:45], v[67:68]
	v_add_f64 v[73:74], v[48:49], v[69:70]
	v_fma_f64 v[63:64], v[38:39], s[28:29], v[34:35]
	v_fma_f64 v[65:66], v[32:33], s[28:29], v[40:41]
	v_add_f64 v[48:49], v[36:37], v[67:68]
	v_add_f64 v[50:51], v[50:51], v[69:70]
	;; [unrolled: 1-line block ×5, first 2 shown]
	v_add_f64 v[34:35], v[73:74], -v[57:58]
	v_add_f64 v[57:58], v[57:58], v[73:74]
	v_add_f64 v[36:37], v[65:66], v[48:49]
	v_add_f64 v[38:39], v[50:51], -v[63:64]
	v_add_f64 v[40:41], v[44:45], -v[61:62]
	v_add_f64 v[42:43], v[55:56], v[46:47]
	v_add_f64 v[44:45], v[61:62], v[44:45]
	v_add_f64 v[46:47], v[46:47], -v[55:56]
	v_add_f64 v[48:49], v[48:49], -v[65:66]
	v_add_f64 v[50:51], v[63:64], v[50:51]
	v_add_f64 v[55:56], v[71:72], -v[59:60]
	v_mad_u64_u32 v[59:60], null, s2, v52, 0
	v_mad_u64_u32 v[61:62], null, s0, v53, 0
	ds_write_b128 v54, v[28:31]
	ds_write_b128 v54, v[32:35] offset:112
	ds_write_b128 v54, v[36:39] offset:224
	;; [unrolled: 1-line block ×6, first 2 shown]
	v_mad_u64_u32 v[63:64], null, s3, v52, v[60:61]
	s_waitcnt lgkmcnt(0)
	s_barrier
	buffer_gl0_inv
	ds_read_b128 v[28:31], v54
	ds_read_b128 v[32:35], v54 offset:112
	ds_read_b128 v[36:39], v54 offset:224
	;; [unrolled: 1-line block ×4, first 2 shown]
	v_mad_u64_u32 v[48:49], null, s1, v53, v[62:63]
	v_mov_b32_e32 v60, v63
	s_mulk_i32 s1, 0x70
	s_mul_hi_u32 s2, s0, 0x70
	s_mul_i32 s3, s0, 0x70
	s_add_i32 s2, s2, s1
	v_lshlrev_b64 v[56:57], 4, v[59:60]
	v_mov_b32_e32 v62, v48
	ds_read_b128 v[48:51], v54 offset:560
	ds_read_b128 v[52:55], v54 offset:672
	s_mov_b32 s0, 0xa72f0539
	s_mov_b32 s1, 0x3f94e5e0
	v_add_co_u32 v72, vcc_lo, s4, v56
	v_add_co_ci_u32_e32 v73, vcc_lo, s5, v57, vcc_lo
	s_waitcnt lgkmcnt(6)
	v_mul_f64 v[56:57], v[2:3], v[30:31]
	v_mul_f64 v[2:3], v[2:3], v[28:29]
	v_lshlrev_b64 v[58:59], 4, v[61:62]
	s_waitcnt lgkmcnt(5)
	v_mul_f64 v[60:61], v[6:7], v[34:35]
	v_mul_f64 v[6:7], v[6:7], v[32:33]
	s_waitcnt lgkmcnt(4)
	v_mul_f64 v[62:63], v[10:11], v[38:39]
	v_mul_f64 v[10:11], v[10:11], v[36:37]
	;; [unrolled: 3-line block ×4, first 2 shown]
	v_add_co_u32 v58, vcc_lo, v72, v58
	s_waitcnt lgkmcnt(1)
	v_mul_f64 v[68:69], v[22:23], v[50:51]
	v_mul_f64 v[22:23], v[22:23], v[48:49]
	s_waitcnt lgkmcnt(0)
	v_mul_f64 v[70:71], v[26:27], v[54:55]
	v_mul_f64 v[26:27], v[26:27], v[52:53]
	v_add_co_ci_u32_e32 v59, vcc_lo, v73, v59, vcc_lo
	v_add_co_u32 v72, vcc_lo, v58, s3
	v_fma_f64 v[28:29], v[0:1], v[28:29], v[56:57]
	v_fma_f64 v[2:3], v[0:1], v[30:31], -v[2:3]
	v_add_co_ci_u32_e32 v73, vcc_lo, s2, v59, vcc_lo
	v_fma_f64 v[30:31], v[4:5], v[32:33], v[60:61]
	v_fma_f64 v[6:7], v[4:5], v[34:35], -v[6:7]
	v_fma_f64 v[32:33], v[8:9], v[36:37], v[62:63]
	v_fma_f64 v[10:11], v[8:9], v[38:39], -v[10:11]
	;; [unrolled: 2-line block ×4, first 2 shown]
	v_add_co_u32 v42, vcc_lo, v72, s3
	v_fma_f64 v[38:39], v[20:21], v[48:49], v[68:69]
	v_fma_f64 v[22:23], v[20:21], v[50:51], -v[22:23]
	v_fma_f64 v[40:41], v[24:25], v[52:53], v[70:71]
	v_fma_f64 v[26:27], v[24:25], v[54:55], -v[26:27]
	v_add_co_ci_u32_e32 v43, vcc_lo, s2, v73, vcc_lo
	v_add_co_u32 v44, vcc_lo, v42, s3
	v_mul_f64 v[0:1], v[28:29], s[0:1]
	v_mul_f64 v[2:3], v[2:3], s[0:1]
	v_add_co_ci_u32_e32 v45, vcc_lo, s2, v43, vcc_lo
	v_mul_f64 v[4:5], v[30:31], s[0:1]
	v_mul_f64 v[6:7], v[6:7], s[0:1]
	;; [unrolled: 1-line block ×8, first 2 shown]
	v_add_co_u32 v28, vcc_lo, v44, s3
	v_mul_f64 v[20:21], v[38:39], s[0:1]
	v_mul_f64 v[22:23], v[22:23], s[0:1]
	;; [unrolled: 1-line block ×4, first 2 shown]
	v_add_co_ci_u32_e32 v29, vcc_lo, s2, v45, vcc_lo
	v_add_co_u32 v30, vcc_lo, v28, s3
	v_add_co_ci_u32_e32 v31, vcc_lo, s2, v29, vcc_lo
	v_add_co_u32 v32, vcc_lo, v30, s3
	v_add_co_ci_u32_e32 v33, vcc_lo, s2, v31, vcc_lo
	global_store_dwordx4 v[58:59], v[0:3], off
	global_store_dwordx4 v[72:73], v[4:7], off
	;; [unrolled: 1-line block ×7, first 2 shown]
.LBB0_2:
	s_endpgm
	.section	.rodata,"a",@progbits
	.p2align	6, 0x0
	.amdhsa_kernel bluestein_single_back_len49_dim1_dp_op_CI_CI
		.amdhsa_group_segment_fixed_size 7056
		.amdhsa_private_segment_fixed_size 0
		.amdhsa_kernarg_size 104
		.amdhsa_user_sgpr_count 6
		.amdhsa_user_sgpr_private_segment_buffer 1
		.amdhsa_user_sgpr_dispatch_ptr 0
		.amdhsa_user_sgpr_queue_ptr 0
		.amdhsa_user_sgpr_kernarg_segment_ptr 1
		.amdhsa_user_sgpr_dispatch_id 0
		.amdhsa_user_sgpr_flat_scratch_init 0
		.amdhsa_user_sgpr_private_segment_size 0
		.amdhsa_wavefront_size32 1
		.amdhsa_uses_dynamic_stack 0
		.amdhsa_system_sgpr_private_segment_wavefront_offset 0
		.amdhsa_system_sgpr_workgroup_id_x 1
		.amdhsa_system_sgpr_workgroup_id_y 0
		.amdhsa_system_sgpr_workgroup_id_z 0
		.amdhsa_system_sgpr_workgroup_info 0
		.amdhsa_system_vgpr_workitem_id 0
		.amdhsa_next_free_vgpr 101
		.amdhsa_next_free_sgpr 36
		.amdhsa_reserve_vcc 1
		.amdhsa_reserve_flat_scratch 0
		.amdhsa_float_round_mode_32 0
		.amdhsa_float_round_mode_16_64 0
		.amdhsa_float_denorm_mode_32 3
		.amdhsa_float_denorm_mode_16_64 3
		.amdhsa_dx10_clamp 1
		.amdhsa_ieee_mode 1
		.amdhsa_fp16_overflow 0
		.amdhsa_workgroup_processor_mode 1
		.amdhsa_memory_ordered 1
		.amdhsa_forward_progress 0
		.amdhsa_shared_vgpr_count 0
		.amdhsa_exception_fp_ieee_invalid_op 0
		.amdhsa_exception_fp_denorm_src 0
		.amdhsa_exception_fp_ieee_div_zero 0
		.amdhsa_exception_fp_ieee_overflow 0
		.amdhsa_exception_fp_ieee_underflow 0
		.amdhsa_exception_fp_ieee_inexact 0
		.amdhsa_exception_int_div_zero 0
	.end_amdhsa_kernel
	.text
.Lfunc_end0:
	.size	bluestein_single_back_len49_dim1_dp_op_CI_CI, .Lfunc_end0-bluestein_single_back_len49_dim1_dp_op_CI_CI
                                        ; -- End function
	.section	.AMDGPU.csdata,"",@progbits
; Kernel info:
; codeLenInByte = 5756
; NumSgprs: 38
; NumVgprs: 101
; ScratchSize: 0
; MemoryBound: 0
; FloatMode: 240
; IeeeMode: 1
; LDSByteSize: 7056 bytes/workgroup (compile time only)
; SGPRBlocks: 4
; VGPRBlocks: 12
; NumSGPRsForWavesPerEU: 38
; NumVGPRsForWavesPerEU: 101
; Occupancy: 9
; WaveLimiterHint : 1
; COMPUTE_PGM_RSRC2:SCRATCH_EN: 0
; COMPUTE_PGM_RSRC2:USER_SGPR: 6
; COMPUTE_PGM_RSRC2:TRAP_HANDLER: 0
; COMPUTE_PGM_RSRC2:TGID_X_EN: 1
; COMPUTE_PGM_RSRC2:TGID_Y_EN: 0
; COMPUTE_PGM_RSRC2:TGID_Z_EN: 0
; COMPUTE_PGM_RSRC2:TIDIG_COMP_CNT: 0
	.text
	.p2alignl 6, 3214868480
	.fill 48, 4, 3214868480
	.type	__hip_cuid_c42fa5331f751c16,@object ; @__hip_cuid_c42fa5331f751c16
	.section	.bss,"aw",@nobits
	.globl	__hip_cuid_c42fa5331f751c16
__hip_cuid_c42fa5331f751c16:
	.byte	0                               ; 0x0
	.size	__hip_cuid_c42fa5331f751c16, 1

	.ident	"AMD clang version 19.0.0git (https://github.com/RadeonOpenCompute/llvm-project roc-6.4.0 25133 c7fe45cf4b819c5991fe208aaa96edf142730f1d)"
	.section	".note.GNU-stack","",@progbits
	.addrsig
	.addrsig_sym __hip_cuid_c42fa5331f751c16
	.amdgpu_metadata
---
amdhsa.kernels:
  - .args:
      - .actual_access:  read_only
        .address_space:  global
        .offset:         0
        .size:           8
        .value_kind:     global_buffer
      - .actual_access:  read_only
        .address_space:  global
        .offset:         8
        .size:           8
        .value_kind:     global_buffer
      - .actual_access:  read_only
        .address_space:  global
        .offset:         16
        .size:           8
        .value_kind:     global_buffer
      - .actual_access:  read_only
        .address_space:  global
        .offset:         24
        .size:           8
        .value_kind:     global_buffer
      - .actual_access:  read_only
        .address_space:  global
        .offset:         32
        .size:           8
        .value_kind:     global_buffer
      - .offset:         40
        .size:           8
        .value_kind:     by_value
      - .address_space:  global
        .offset:         48
        .size:           8
        .value_kind:     global_buffer
      - .address_space:  global
        .offset:         56
        .size:           8
        .value_kind:     global_buffer
      - .address_space:  global
        .offset:         64
        .size:           8
        .value_kind:     global_buffer
      - .address_space:  global
        .offset:         72
        .size:           8
        .value_kind:     global_buffer
      - .offset:         80
        .size:           4
        .value_kind:     by_value
      - .address_space:  global
        .offset:         88
        .size:           8
        .value_kind:     global_buffer
      - .address_space:  global
        .offset:         96
        .size:           8
        .value_kind:     global_buffer
    .group_segment_fixed_size: 7056
    .kernarg_segment_align: 8
    .kernarg_segment_size: 104
    .language:       OpenCL C
    .language_version:
      - 2
      - 0
    .max_flat_workgroup_size: 63
    .name:           bluestein_single_back_len49_dim1_dp_op_CI_CI
    .private_segment_fixed_size: 0
    .sgpr_count:     38
    .sgpr_spill_count: 0
    .symbol:         bluestein_single_back_len49_dim1_dp_op_CI_CI.kd
    .uniform_work_group_size: 1
    .uses_dynamic_stack: false
    .vgpr_count:     101
    .vgpr_spill_count: 0
    .wavefront_size: 32
    .workgroup_processor_mode: 1
amdhsa.target:   amdgcn-amd-amdhsa--gfx1030
amdhsa.version:
  - 1
  - 2
...

	.end_amdgpu_metadata
